;; amdgpu-corpus repo=ROCm/rocFFT kind=compiled arch=gfx950 opt=O3
	.text
	.amdgcn_target "amdgcn-amd-amdhsa--gfx950"
	.amdhsa_code_object_version 6
	.protected	fft_rtc_back_len208_factors_13_16_wgs_64_tpt_16_halfLds_dp_ip_CI_unitstride_sbrr_dirReg ; -- Begin function fft_rtc_back_len208_factors_13_16_wgs_64_tpt_16_halfLds_dp_ip_CI_unitstride_sbrr_dirReg
	.globl	fft_rtc_back_len208_factors_13_16_wgs_64_tpt_16_halfLds_dp_ip_CI_unitstride_sbrr_dirReg
	.p2align	8
	.type	fft_rtc_back_len208_factors_13_16_wgs_64_tpt_16_halfLds_dp_ip_CI_unitstride_sbrr_dirReg,@function
fft_rtc_back_len208_factors_13_16_wgs_64_tpt_16_halfLds_dp_ip_CI_unitstride_sbrr_dirReg: ; @fft_rtc_back_len208_factors_13_16_wgs_64_tpt_16_halfLds_dp_ip_CI_unitstride_sbrr_dirReg
; %bb.0:
	s_load_dwordx2 s[8:9], s[0:1], 0x50
	s_load_dwordx4 s[4:7], s[0:1], 0x0
	s_load_dwordx2 s[10:11], s[0:1], 0x18
	v_lshrrev_b32_e32 v24, 4, v0
	v_lshl_or_b32 v6, s2, 2, v24
	v_mov_b32_e32 v4, 0
	s_waitcnt lgkmcnt(0)
	v_cmp_lt_u64_e64 s[2:3], s[6:7], 2
	v_mov_b32_e32 v7, v4
	s_and_b64 vcc, exec, s[2:3]
	v_mov_b64_e32 v[2:3], 0
	s_cbranch_vccnz .LBB0_8
; %bb.1:
	s_load_dwordx2 s[2:3], s[0:1], 0x10
	s_add_u32 s12, s10, 8
	s_addc_u32 s13, s11, 0
	s_mov_b64 s[14:15], 1
	v_mov_b64_e32 v[2:3], 0
	s_waitcnt lgkmcnt(0)
	s_add_u32 s16, s2, 8
	s_addc_u32 s17, s3, 0
.LBB0_2:                                ; =>This Inner Loop Header: Depth=1
	s_load_dwordx2 s[18:19], s[16:17], 0x0
                                        ; implicit-def: $vgpr8_vgpr9
	s_waitcnt lgkmcnt(0)
	v_or_b32_e32 v5, s19, v7
	v_cmp_ne_u64_e32 vcc, 0, v[4:5]
	s_and_saveexec_b64 s[2:3], vcc
	s_xor_b64 s[20:21], exec, s[2:3]
	s_cbranch_execz .LBB0_4
; %bb.3:                                ;   in Loop: Header=BB0_2 Depth=1
	v_cvt_f32_u32_e32 v1, s18
	v_cvt_f32_u32_e32 v5, s19
	s_sub_u32 s2, 0, s18
	s_subb_u32 s3, 0, s19
	v_fmac_f32_e32 v1, 0x4f800000, v5
	v_rcp_f32_e32 v1, v1
	s_nop 0
	v_mul_f32_e32 v1, 0x5f7ffffc, v1
	v_mul_f32_e32 v5, 0x2f800000, v1
	v_trunc_f32_e32 v5, v5
	v_fmac_f32_e32 v1, 0xcf800000, v5
	v_cvt_u32_f32_e32 v5, v5
	v_cvt_u32_f32_e32 v1, v1
	v_mul_lo_u32 v8, s2, v5
	v_mul_hi_u32 v10, s2, v1
	v_mul_lo_u32 v9, s3, v1
	v_add_u32_e32 v10, v10, v8
	v_mul_lo_u32 v12, s2, v1
	v_add_u32_e32 v13, v10, v9
	v_mul_hi_u32 v8, v1, v12
	v_mul_hi_u32 v11, v1, v13
	v_mul_lo_u32 v10, v1, v13
	v_mov_b32_e32 v9, v4
	v_lshl_add_u64 v[8:9], v[8:9], 0, v[10:11]
	v_mul_hi_u32 v11, v5, v12
	v_mul_lo_u32 v12, v5, v12
	v_add_co_u32_e32 v8, vcc, v8, v12
	v_mul_hi_u32 v10, v5, v13
	s_nop 0
	v_addc_co_u32_e32 v8, vcc, v9, v11, vcc
	v_mov_b32_e32 v9, v4
	s_nop 0
	v_addc_co_u32_e32 v11, vcc, 0, v10, vcc
	v_mul_lo_u32 v10, v5, v13
	v_lshl_add_u64 v[8:9], v[8:9], 0, v[10:11]
	v_add_co_u32_e32 v1, vcc, v1, v8
	v_mul_lo_u32 v10, s2, v1
	s_nop 0
	v_addc_co_u32_e32 v5, vcc, v5, v9, vcc
	v_mul_lo_u32 v8, s2, v5
	v_mul_hi_u32 v9, s2, v1
	v_add_u32_e32 v8, v9, v8
	v_mul_lo_u32 v9, s3, v1
	v_add_u32_e32 v12, v8, v9
	v_mul_hi_u32 v14, v5, v10
	v_mul_lo_u32 v15, v5, v10
	v_mul_hi_u32 v9, v1, v12
	v_mul_lo_u32 v8, v1, v12
	v_mul_hi_u32 v10, v1, v10
	v_mov_b32_e32 v11, v4
	v_lshl_add_u64 v[8:9], v[10:11], 0, v[8:9]
	v_add_co_u32_e32 v8, vcc, v8, v15
	v_mul_hi_u32 v13, v5, v12
	s_nop 0
	v_addc_co_u32_e32 v8, vcc, v9, v14, vcc
	v_mul_lo_u32 v10, v5, v12
	s_nop 0
	v_addc_co_u32_e32 v11, vcc, 0, v13, vcc
	v_mov_b32_e32 v9, v4
	v_lshl_add_u64 v[8:9], v[8:9], 0, v[10:11]
	v_add_co_u32_e32 v1, vcc, v1, v8
	v_mul_hi_u32 v10, v6, v1
	s_nop 0
	v_addc_co_u32_e32 v5, vcc, v5, v9, vcc
	v_mad_u64_u32 v[8:9], s[2:3], v6, v5, 0
	v_mov_b32_e32 v11, v4
	v_lshl_add_u64 v[8:9], v[10:11], 0, v[8:9]
	v_mad_u64_u32 v[12:13], s[2:3], v7, v1, 0
	v_add_co_u32_e32 v1, vcc, v8, v12
	v_mad_u64_u32 v[10:11], s[2:3], v7, v5, 0
	s_nop 0
	v_addc_co_u32_e32 v8, vcc, v9, v13, vcc
	v_mov_b32_e32 v9, v4
	s_nop 0
	v_addc_co_u32_e32 v11, vcc, 0, v11, vcc
	v_lshl_add_u64 v[8:9], v[8:9], 0, v[10:11]
	v_mul_lo_u32 v1, s19, v8
	v_mul_lo_u32 v5, s18, v9
	v_mad_u64_u32 v[10:11], s[2:3], s18, v8, 0
	v_add3_u32 v1, v11, v5, v1
	v_sub_u32_e32 v5, v7, v1
	v_mov_b32_e32 v11, s19
	v_sub_co_u32_e32 v14, vcc, v6, v10
	v_lshl_add_u64 v[12:13], v[8:9], 0, 1
	s_nop 0
	v_subb_co_u32_e64 v5, s[2:3], v5, v11, vcc
	v_subrev_co_u32_e64 v10, s[2:3], s18, v14
	v_subb_co_u32_e32 v1, vcc, v7, v1, vcc
	s_nop 0
	v_subbrev_co_u32_e64 v5, s[2:3], 0, v5, s[2:3]
	v_cmp_le_u32_e64 s[2:3], s19, v5
	v_cmp_le_u32_e32 vcc, s19, v1
	s_nop 0
	v_cndmask_b32_e64 v11, 0, -1, s[2:3]
	v_cmp_le_u32_e64 s[2:3], s18, v10
	s_nop 1
	v_cndmask_b32_e64 v10, 0, -1, s[2:3]
	v_cmp_eq_u32_e64 s[2:3], s19, v5
	s_nop 1
	v_cndmask_b32_e64 v5, v11, v10, s[2:3]
	v_lshl_add_u64 v[10:11], v[8:9], 0, 2
	v_cmp_ne_u32_e64 s[2:3], 0, v5
	s_nop 1
	v_cndmask_b32_e64 v5, v13, v11, s[2:3]
	v_cndmask_b32_e64 v11, 0, -1, vcc
	v_cmp_le_u32_e32 vcc, s18, v14
	s_nop 1
	v_cndmask_b32_e64 v13, 0, -1, vcc
	v_cmp_eq_u32_e32 vcc, s19, v1
	s_nop 1
	v_cndmask_b32_e32 v1, v11, v13, vcc
	v_cmp_ne_u32_e32 vcc, 0, v1
	v_cndmask_b32_e64 v1, v12, v10, s[2:3]
	s_nop 0
	v_cndmask_b32_e32 v9, v9, v5, vcc
	v_cndmask_b32_e32 v8, v8, v1, vcc
.LBB0_4:                                ;   in Loop: Header=BB0_2 Depth=1
	s_andn2_saveexec_b64 s[2:3], s[20:21]
	s_cbranch_execz .LBB0_6
; %bb.5:                                ;   in Loop: Header=BB0_2 Depth=1
	v_cvt_f32_u32_e32 v1, s18
	s_sub_i32 s20, 0, s18
	v_rcp_iflag_f32_e32 v1, v1
	s_nop 0
	v_mul_f32_e32 v1, 0x4f7ffffe, v1
	v_cvt_u32_f32_e32 v1, v1
	v_mul_lo_u32 v5, s20, v1
	v_mul_hi_u32 v5, v1, v5
	v_add_u32_e32 v1, v1, v5
	v_mul_hi_u32 v1, v6, v1
	v_mul_lo_u32 v5, v1, s18
	v_sub_u32_e32 v5, v6, v5
	v_add_u32_e32 v8, 1, v1
	v_subrev_u32_e32 v9, s18, v5
	v_cmp_le_u32_e32 vcc, s18, v5
	s_nop 1
	v_cndmask_b32_e32 v5, v5, v9, vcc
	v_cndmask_b32_e32 v1, v1, v8, vcc
	v_add_u32_e32 v8, 1, v1
	v_cmp_le_u32_e32 vcc, s18, v5
	v_mov_b32_e32 v9, v4
	s_nop 0
	v_cndmask_b32_e32 v8, v1, v8, vcc
.LBB0_6:                                ;   in Loop: Header=BB0_2 Depth=1
	s_or_b64 exec, exec, s[2:3]
	v_mad_u64_u32 v[10:11], s[2:3], v8, s18, 0
	s_load_dwordx2 s[2:3], s[12:13], 0x0
	v_mul_lo_u32 v1, v9, s18
	v_mul_lo_u32 v5, v8, s19
	v_add3_u32 v1, v11, v5, v1
	v_sub_co_u32_e32 v5, vcc, v6, v10
	s_add_u32 s14, s14, 1
	s_nop 0
	v_subb_co_u32_e32 v1, vcc, v7, v1, vcc
	s_addc_u32 s15, s15, 0
	s_waitcnt lgkmcnt(0)
	v_mul_lo_u32 v1, s2, v1
	v_mul_lo_u32 v6, s3, v5
	v_mad_u64_u32 v[2:3], s[2:3], s2, v5, v[2:3]
	s_add_u32 s12, s12, 8
	v_add3_u32 v3, v6, v3, v1
	s_addc_u32 s13, s13, 0
	v_mov_b64_e32 v[6:7], s[6:7]
	s_add_u32 s16, s16, 8
	v_cmp_ge_u64_e32 vcc, s[14:15], v[6:7]
	s_addc_u32 s17, s17, 0
	s_cbranch_vccnz .LBB0_9
; %bb.7:                                ;   in Loop: Header=BB0_2 Depth=1
	v_mov_b64_e32 v[6:7], v[8:9]
	s_branch .LBB0_2
.LBB0_8:
	v_mov_b64_e32 v[8:9], v[6:7]
.LBB0_9:
	s_lshl_b64 s[2:3], s[6:7], 3
	s_add_u32 s2, s10, s2
	s_addc_u32 s3, s11, s3
	s_load_dwordx2 s[6:7], s[2:3], 0x0
	s_load_dwordx2 s[10:11], s[0:1], 0x20
	v_and_b32_e32 v88, 15, v0
	v_lshlrev_b32_e32 v62, 4, v88
                                        ; implicit-def: $vgpr46_vgpr47
                                        ; implicit-def: $vgpr34_vgpr35
                                        ; implicit-def: $vgpr30_vgpr31
                                        ; implicit-def: $vgpr18_vgpr19
                                        ; implicit-def: $vgpr14_vgpr15
                                        ; implicit-def: $vgpr6_vgpr7
                                        ; implicit-def: $vgpr22_vgpr23
                                        ; implicit-def: $vgpr50_vgpr51
                                        ; implicit-def: $vgpr54_vgpr55
                                        ; implicit-def: $vgpr58_vgpr59
                                        ; implicit-def: $vgpr42_vgpr43
                                        ; implicit-def: $vgpr10_vgpr11
                                        ; implicit-def: $vgpr38_vgpr39
	s_waitcnt lgkmcnt(0)
	v_mul_lo_u32 v1, s6, v9
	v_mul_lo_u32 v4, s7, v8
	v_mad_u64_u32 v[2:3], s[0:1], s6, v8, v[2:3]
	v_add3_u32 v3, v4, v3, v1
	v_cmp_gt_u64_e32 vcc, s[10:11], v[8:9]
	v_lshl_add_u64 v[60:61], v[2:3], 4, s[8:9]
	s_and_saveexec_b64 s[0:1], vcc
	s_cbranch_execz .LBB0_11
; %bb.10:
	v_mov_b32_e32 v63, 0
	v_lshl_add_u64 v[0:1], v[60:61], 0, v[62:63]
	global_load_dwordx4 v[36:39], v[0:1], off
	global_load_dwordx4 v[44:47], v[0:1], off offset:256
	global_load_dwordx4 v[32:35], v[0:1], off offset:512
	;; [unrolled: 1-line block ×12, first 2 shown]
.LBB0_11:
	s_or_b64 exec, exec, s[0:1]
	s_mov_b32 s36, 0x4267c47c
	s_waitcnt vmcnt(0)
	v_add_f64 v[2:3], v[46:47], -v[58:59]
	s_mov_b32 s37, 0xbfddbe06
	s_mov_b32 s8, 0xe00740e9
	;; [unrolled: 1-line block ×7, first 2 shown]
	v_add_f64 v[0:1], v[44:45], v[56:57]
	v_mul_f64 v[26:27], v[2:3], s[36:37]
	s_mov_b32 s9, 0x3fec55a7
	s_mov_b32 s15, 0xbfea55e2
	;; [unrolled: 1-line block ×11, first 2 shown]
	v_fma_f64 v[64:65], s[8:9], v[0:1], v[26:27]
	s_mov_b32 s7, 0x3fe22d96
	v_mul_f64 v[66:67], v[2:3], s[14:15]
	s_mov_b32 s3, 0x3fbedb7d
	v_mul_f64 v[70:71], v[2:3], s[26:27]
	;; [unrolled: 2-line block ×4, first 2 shown]
	v_mul_f64 v[2:3], v[2:3], s[20:21]
	s_mov_b32 s23, 0xbfef11f4
	v_add_f64 v[84:85], v[34:35], -v[54:55]
	v_fma_f64 v[26:27], v[0:1], s[8:9], -v[26:27]
	v_fma_f64 v[68:69], s[6:7], v[0:1], v[66:67]
	v_fma_f64 v[66:67], v[0:1], s[6:7], -v[66:67]
	v_fma_f64 v[72:73], s[2:3], v[0:1], v[70:71]
	;; [unrolled: 2-line block ×5, first 2 shown]
	v_fma_f64 v[0:1], v[0:1], s[22:23], -v[2:3]
	v_add_f64 v[2:3], v[64:65], v[36:37]
	v_add_f64 v[64:65], v[32:33], v[52:53]
	v_mul_f64 v[86:87], v[84:85], s[14:15]
	v_fma_f64 v[90:91], s[6:7], v[64:65], v[86:87]
	v_add_f64 v[26:27], v[26:27], v[36:37]
	v_fma_f64 v[86:87], v[64:65], s[6:7], -v[86:87]
	v_add_f64 v[26:27], v[86:87], v[26:27]
	v_mul_f64 v[86:87], v[84:85], s[10:11]
	v_add_f64 v[2:3], v[90:91], v[2:3]
	v_fma_f64 v[90:91], s[12:13], v[64:65], v[86:87]
	v_add_f64 v[66:67], v[66:67], v[36:37]
	v_fma_f64 v[86:87], v[64:65], s[12:13], -v[86:87]
	v_add_f64 v[68:69], v[68:69], v[36:37]
	v_add_f64 v[66:67], v[86:87], v[66:67]
	v_mul_f64 v[86:87], v[84:85], s[20:21]
	v_add_f64 v[68:69], v[90:91], v[68:69]
	v_fma_f64 v[90:91], s[22:23], v[64:65], v[86:87]
	v_add_f64 v[70:71], v[70:71], v[36:37]
	v_fma_f64 v[86:87], v[64:65], s[22:23], -v[86:87]
	s_mov_b32 s35, 0x3fe5384d
	s_mov_b32 s34, s16
	v_add_f64 v[72:73], v[72:73], v[36:37]
	v_add_f64 v[70:71], v[86:87], v[70:71]
	v_mul_f64 v[86:87], v[84:85], s[34:35]
	v_add_f64 v[72:73], v[90:91], v[72:73]
	v_fma_f64 v[90:91], s[18:19], v[64:65], v[86:87]
	v_add_f64 v[74:75], v[74:75], v[36:37]
	v_fma_f64 v[86:87], v[64:65], s[18:19], -v[86:87]
	s_mov_b32 s25, 0x3fefc445
	s_mov_b32 s24, s26
	v_add_f64 v[76:77], v[76:77], v[36:37]
	v_add_f64 v[74:75], v[86:87], v[74:75]
	v_mul_f64 v[86:87], v[84:85], s[24:25]
	s_mov_b32 s29, 0x3fddbe06
	s_mov_b32 s28, s36
	v_add_f64 v[76:77], v[90:91], v[76:77]
	v_fma_f64 v[90:91], s[2:3], v[64:65], v[86:87]
	v_add_f64 v[78:79], v[78:79], v[36:37]
	v_fma_f64 v[86:87], v[64:65], s[2:3], -v[86:87]
	v_mul_f64 v[84:85], v[84:85], s[28:29]
	v_add_f64 v[78:79], v[86:87], v[78:79]
	v_add_f64 v[82:83], v[82:83], v[36:37]
	v_fma_f64 v[86:87], s[8:9], v[64:65], v[84:85]
	v_fma_f64 v[64:65], v[64:65], s[8:9], -v[84:85]
	v_add_f64 v[0:1], v[0:1], v[36:37]
	v_add_f64 v[84:85], v[30:31], -v[50:51]
	v_add_f64 v[80:81], v[80:81], v[36:37]
	v_add_f64 v[82:83], v[86:87], v[82:83]
	;; [unrolled: 1-line block ×4, first 2 shown]
	v_mul_f64 v[86:87], v[84:85], s[26:27]
	v_add_f64 v[80:81], v[90:91], v[80:81]
	v_fma_f64 v[90:91], s[2:3], v[64:65], v[86:87]
	v_fma_f64 v[86:87], v[64:65], s[2:3], -v[86:87]
	v_add_f64 v[26:27], v[86:87], v[26:27]
	v_mul_f64 v[86:87], v[84:85], s[20:21]
	v_add_f64 v[2:3], v[90:91], v[2:3]
	v_fma_f64 v[90:91], s[22:23], v[64:65], v[86:87]
	v_fma_f64 v[86:87], v[64:65], s[22:23], -v[86:87]
	s_mov_b32 s41, 0x3fedeba7
	s_mov_b32 s40, s10
	v_add_f64 v[66:67], v[86:87], v[66:67]
	v_mul_f64 v[86:87], v[84:85], s[40:41]
	v_add_f64 v[68:69], v[90:91], v[68:69]
	v_fma_f64 v[90:91], s[12:13], v[64:65], v[86:87]
	v_fma_f64 v[86:87], v[64:65], s[12:13], -v[86:87]
	v_add_f64 v[70:71], v[86:87], v[70:71]
	v_mul_f64 v[86:87], v[84:85], s[28:29]
	v_add_f64 v[72:73], v[90:91], v[72:73]
	v_fma_f64 v[90:91], s[8:9], v[64:65], v[86:87]
	v_fma_f64 v[86:87], v[64:65], s[8:9], -v[86:87]
	;; [unrolled: 5-line block ×3, first 2 shown]
	v_mul_f64 v[84:85], v[84:85], s[16:17]
	v_add_f64 v[78:79], v[86:87], v[78:79]
	v_fma_f64 v[86:87], s[18:19], v[64:65], v[84:85]
	v_fma_f64 v[64:65], v[64:65], s[18:19], -v[84:85]
	v_add_f64 v[84:85], v[18:19], -v[42:43]
	v_add_f64 v[82:83], v[86:87], v[82:83]
	v_add_f64 v[0:1], v[64:65], v[0:1]
	;; [unrolled: 1-line block ×3, first 2 shown]
	v_mul_f64 v[86:87], v[84:85], s[10:11]
	v_add_f64 v[80:81], v[90:91], v[80:81]
	v_fma_f64 v[90:91], s[12:13], v[64:65], v[86:87]
	v_fma_f64 v[86:87], v[64:65], s[12:13], -v[86:87]
	v_add_f64 v[26:27], v[86:87], v[26:27]
	v_mul_f64 v[86:87], v[84:85], s[34:35]
	v_add_f64 v[2:3], v[90:91], v[2:3]
	v_fma_f64 v[90:91], s[18:19], v[64:65], v[86:87]
	v_fma_f64 v[86:87], v[64:65], s[18:19], -v[86:87]
	v_add_f64 v[66:67], v[86:87], v[66:67]
	;; [unrolled: 5-line block ×3, first 2 shown]
	v_mul_f64 v[86:87], v[84:85], s[26:27]
	v_add_f64 v[72:73], v[90:91], v[72:73]
	v_fma_f64 v[90:91], s[2:3], v[64:65], v[86:87]
	v_fma_f64 v[86:87], v[64:65], s[2:3], -v[86:87]
	s_mov_b32 s39, 0x3fcea1e5
	s_mov_b32 s38, s20
	v_add_f64 v[74:75], v[86:87], v[74:75]
	v_mul_f64 v[86:87], v[84:85], s[38:39]
	s_mov_b32 s31, 0x3fea55e2
	s_mov_b32 s30, s14
	v_add_f64 v[76:77], v[90:91], v[76:77]
	v_fma_f64 v[90:91], s[22:23], v[64:65], v[86:87]
	v_fma_f64 v[86:87], v[64:65], s[22:23], -v[86:87]
	v_mul_f64 v[84:85], v[84:85], s[30:31]
	v_add_f64 v[78:79], v[86:87], v[78:79]
	v_fma_f64 v[86:87], s[6:7], v[64:65], v[84:85]
	v_fma_f64 v[64:65], v[64:65], s[6:7], -v[84:85]
	v_add_f64 v[84:85], v[14:15], -v[22:23]
	v_add_f64 v[82:83], v[86:87], v[82:83]
	v_add_f64 v[0:1], v[64:65], v[0:1]
	;; [unrolled: 1-line block ×3, first 2 shown]
	v_mul_f64 v[86:87], v[84:85], s[16:17]
	v_add_f64 v[80:81], v[90:91], v[80:81]
	v_fma_f64 v[90:91], s[18:19], v[64:65], v[86:87]
	v_fma_f64 v[86:87], v[64:65], s[18:19], -v[86:87]
	v_add_f64 v[26:27], v[86:87], v[26:27]
	v_mul_f64 v[86:87], v[84:85], s[24:25]
	v_add_f64 v[2:3], v[90:91], v[2:3]
	v_fma_f64 v[90:91], s[2:3], v[64:65], v[86:87]
	v_add_f64 v[90:91], v[90:91], v[68:69]
	v_fma_f64 v[68:69], v[64:65], s[2:3], -v[86:87]
	v_add_f64 v[66:67], v[68:69], v[66:67]
	v_mul_f64 v[68:69], v[84:85], s[14:15]
	v_fma_f64 v[86:87], s[6:7], v[64:65], v[68:69]
	v_fma_f64 v[68:69], v[64:65], s[6:7], -v[68:69]
	v_add_f64 v[70:71], v[68:69], v[70:71]
	v_mul_f64 v[68:69], v[84:85], s[38:39]
	v_add_f64 v[86:87], v[86:87], v[72:73]
	v_fma_f64 v[72:73], s[22:23], v[64:65], v[68:69]
	v_fma_f64 v[68:69], v[64:65], s[22:23], -v[68:69]
	v_add_f64 v[92:93], v[68:69], v[74:75]
	v_mul_f64 v[68:69], v[84:85], s[28:29]
	v_add_f64 v[76:77], v[72:73], v[76:77]
	v_fma_f64 v[72:73], s[8:9], v[64:65], v[68:69]
	v_fma_f64 v[68:69], v[64:65], s[8:9], -v[68:69]
	v_add_f64 v[94:95], v[68:69], v[78:79]
	v_mul_f64 v[68:69], v[84:85], s[10:11]
	v_add_f64 v[100:101], v[10:11], -v[6:7]
	v_add_f64 v[80:81], v[72:73], v[80:81]
	v_fma_f64 v[72:73], s[12:13], v[64:65], v[68:69]
	v_fma_f64 v[64:65], v[64:65], s[12:13], -v[68:69]
	v_add_f64 v[98:99], v[4:5], v[8:9]
	v_mul_f64 v[102:103], v[100:101], s[20:21]
	v_add_f64 v[96:97], v[64:65], v[0:1]
	v_fma_f64 v[0:1], s[22:23], v[98:99], v[102:103]
	v_add_f64 v[68:69], v[0:1], v[2:3]
	v_mul_f64 v[0:1], v[100:101], s[28:29]
	v_fma_f64 v[2:3], s[8:9], v[98:99], v[0:1]
	v_fma_f64 v[0:1], v[98:99], s[8:9], -v[0:1]
	v_add_f64 v[84:85], v[72:73], v[82:83]
	v_add_f64 v[72:73], v[0:1], v[66:67]
	v_mul_f64 v[0:1], v[100:101], s[16:17]
	v_add_f64 v[78:79], v[2:3], v[90:91]
	v_fma_f64 v[2:3], s[18:19], v[98:99], v[0:1]
	v_fma_f64 v[0:1], v[98:99], s[18:19], -v[0:1]
	v_add_f64 v[82:83], v[0:1], v[70:71]
	v_mul_f64 v[0:1], v[100:101], s[30:31]
	v_add_f64 v[74:75], v[2:3], v[86:87]
	v_fma_f64 v[2:3], s[6:7], v[98:99], v[0:1]
	v_add_f64 v[64:65], v[2:3], v[76:77]
	v_mul_f64 v[2:3], v[100:101], s[10:11]
	v_fma_f64 v[66:67], s[12:13], v[98:99], v[2:3]
	v_fma_f64 v[2:3], v[98:99], s[12:13], -v[2:3]
	v_add_f64 v[70:71], v[66:67], v[80:81]
	v_add_f64 v[66:67], v[2:3], v[94:95]
	v_mul_f64 v[2:3], v[100:101], s[24:25]
	v_fma_f64 v[76:77], s[2:3], v[98:99], v[2:3]
	v_fma_f64 v[2:3], v[98:99], s[2:3], -v[2:3]
	v_add_f64 v[86:87], v[76:77], v[84:85]
	v_add_f64 v[76:77], v[2:3], v[96:97]
	;; [unrolled: 1-line block ×12, first 2 shown]
	v_fma_f64 v[80:81], v[98:99], s[22:23], -v[102:103]
	v_add_f64 v[2:3], v[52:53], v[2:3]
	s_movk_i32 s0, 0x68
	v_fma_f64 v[0:1], v[98:99], s[6:7], -v[0:1]
	v_mul_u32_u24_e32 v24, 0xd0, v24
	v_add_f64 v[36:37], v[56:57], v[2:3]
	v_add_f64 v[2:3], v[80:81], v[26:27]
	v_mad_u32_u24 v26, v88, s0, 0
	v_add_f64 v[0:1], v[0:1], v[92:93]
	v_lshl_add_u32 v63, v24, 3, v26
	v_cmp_gt_u32_e64 s[0:1], 13, v88
	v_lshlrev_b32_e32 v89, 3, v24
	v_lshlrev_b32_e32 v90, 3, v88
	ds_write2_b64 v63, v[36:37], v[68:69] offset1:1
	ds_write2_b64 v63, v[78:79], v[74:75] offset0:2 offset1:3
	ds_write2_b64 v63, v[64:65], v[70:71] offset0:4 offset1:5
	;; [unrolled: 1-line block ×5, first 2 shown]
	ds_write_b64 v63, v[2:3] offset:96
	s_waitcnt lgkmcnt(0)
	; wave barrier
	s_waitcnt lgkmcnt(0)
                                        ; implicit-def: $vgpr84_vgpr85
                                        ; implicit-def: $vgpr24_vgpr25
	s_and_saveexec_b64 s[42:43], s[0:1]
	s_cbranch_execz .LBB0_13
; %bb.12:
	v_mul_i32_i24_e32 v0, 0xffffffa0, v88
	v_add3_u32 v36, 0, v89, v90
	v_add3_u32 v68, v26, v0, v89
	ds_read2_b64 v[64:67], v68 offset0:13 offset1:26
	ds_read2_b64 v[70:73], v68 offset0:39 offset1:52
	;; [unrolled: 1-line block ×7, first 2 shown]
	ds_read_b64 v[36:37], v36
	ds_read_b64 v[84:85], v68 offset:1560
	s_waitcnt lgkmcnt(8)
	v_mov_b64_e32 v[68:69], v[64:65]
	v_mov_b64_e32 v[78:79], v[66:67]
	s_waitcnt lgkmcnt(7)
	v_mov_b64_e32 v[74:75], v[70:71]
	v_mov_b64_e32 v[64:65], v[72:73]
	s_waitcnt lgkmcnt(6)
	v_mov_b64_e32 v[70:71], v[92:93]
	s_waitcnt lgkmcnt(5)
	v_mov_b64_e32 v[76:77], v[80:81]
	v_mov_b64_e32 v[66:67], v[82:83]
	s_waitcnt lgkmcnt(4)
	v_mov_b64_e32 v[82:83], v[98:99]
	s_waitcnt lgkmcnt(3)
	v_mov_b64_e32 v[72:73], v[0:1]
	v_mov_b64_e32 v[0:1], v[96:97]
	;; [unrolled: 1-line block ×3, first 2 shown]
.LBB0_13:
	s_or_b64 exec, exec, s[42:43]
	v_add_f64 v[80:81], v[46:47], v[38:39]
	v_add_f64 v[80:81], v[34:35], v[80:81]
	;; [unrolled: 1-line block ×10, first 2 shown]
	v_add_f64 v[44:45], v[44:45], -v[56:57]
	v_add_f64 v[80:81], v[54:55], v[80:81]
	v_add_f64 v[46:47], v[46:47], v[58:59]
	v_mul_f64 v[56:57], v[44:45], s[36:37]
	v_mul_f64 v[92:93], v[44:45], s[14:15]
	;; [unrolled: 1-line block ×6, first 2 shown]
	v_add_f64 v[80:81], v[58:59], v[80:81]
	v_fma_f64 v[58:59], v[46:47], s[8:9], -v[56:57]
	v_fmac_f64_e32 v[56:57], s[8:9], v[46:47]
	v_fma_f64 v[94:95], v[46:47], s[6:7], -v[92:93]
	v_fmac_f64_e32 v[92:93], s[6:7], v[46:47]
	;; [unrolled: 2-line block ×6, first 2 shown]
	v_add_f64 v[32:33], v[32:33], -v[52:53]
	v_add_f64 v[58:59], v[58:59], v[38:39]
	v_add_f64 v[56:57], v[56:57], v[38:39]
	;; [unrolled: 1-line block ×13, first 2 shown]
	v_mul_f64 v[44:45], v[32:33], s[14:15]
	v_fma_f64 v[46:47], v[34:35], s[6:7], -v[44:45]
	v_fmac_f64_e32 v[44:45], s[6:7], v[34:35]
	v_mul_f64 v[52:53], v[32:33], s[10:11]
	v_add_f64 v[44:45], v[44:45], v[56:57]
	v_fma_f64 v[54:55], v[34:35], s[12:13], -v[52:53]
	v_fmac_f64_e32 v[52:53], s[12:13], v[34:35]
	v_mul_f64 v[56:57], v[32:33], s[20:21]
	v_add_f64 v[46:47], v[46:47], v[58:59]
	v_add_f64 v[52:53], v[52:53], v[92:93]
	v_fma_f64 v[58:59], v[34:35], s[22:23], -v[56:57]
	v_fmac_f64_e32 v[56:57], s[22:23], v[34:35]
	v_mul_f64 v[92:93], v[32:33], s[34:35]
	v_add_f64 v[54:55], v[54:55], v[94:95]
	v_add_f64 v[56:57], v[56:57], v[96:97]
	v_fma_f64 v[94:95], v[34:35], s[18:19], -v[92:93]
	v_fmac_f64_e32 v[92:93], s[18:19], v[34:35]
	v_mul_f64 v[96:97], v[32:33], s[24:25]
	v_mul_f64 v[32:33], v[32:33], s[28:29]
	v_add_f64 v[28:29], v[28:29], -v[48:49]
	v_add_f64 v[58:59], v[58:59], v[98:99]
	v_add_f64 v[92:93], v[92:93], v[100:101]
	v_fma_f64 v[98:99], v[34:35], s[2:3], -v[96:97]
	v_fmac_f64_e32 v[96:97], s[2:3], v[34:35]
	v_fma_f64 v[100:101], v[34:35], s[8:9], -v[32:33]
	v_fmac_f64_e32 v[32:33], s[8:9], v[34:35]
	v_add_f64 v[30:31], v[30:31], v[50:51]
	v_mul_f64 v[34:35], v[28:29], s[26:27]
	v_add_f64 v[32:33], v[32:33], v[38:39]
	v_fma_f64 v[38:39], v[30:31], s[2:3], -v[34:35]
	v_fmac_f64_e32 v[34:35], s[2:3], v[30:31]
	v_add_f64 v[34:35], v[34:35], v[44:45]
	v_mul_f64 v[44:45], v[28:29], s[20:21]
	v_add_f64 v[38:39], v[38:39], v[46:47]
	v_fma_f64 v[46:47], v[30:31], s[22:23], -v[44:45]
	v_fmac_f64_e32 v[44:45], s[22:23], v[30:31]
	v_mul_f64 v[48:49], v[28:29], s[40:41]
	v_add_f64 v[44:45], v[44:45], v[52:53]
	v_fma_f64 v[50:51], v[30:31], s[12:13], -v[48:49]
	v_fmac_f64_e32 v[48:49], s[12:13], v[30:31]
	v_mul_f64 v[52:53], v[28:29], s[28:29]
	v_add_f64 v[46:47], v[46:47], v[54:55]
	v_add_f64 v[48:49], v[48:49], v[56:57]
	v_fma_f64 v[54:55], v[30:31], s[8:9], -v[52:53]
	v_fmac_f64_e32 v[52:53], s[8:9], v[30:31]
	v_mul_f64 v[56:57], v[28:29], s[14:15]
	v_mul_f64 v[28:29], v[28:29], s[16:17]
	v_add_f64 v[16:17], v[16:17], -v[40:41]
	v_add_f64 v[50:51], v[50:51], v[58:59]
	v_add_f64 v[52:53], v[52:53], v[92:93]
	v_fma_f64 v[58:59], v[30:31], s[6:7], -v[56:57]
	v_fmac_f64_e32 v[56:57], s[6:7], v[30:31]
	v_fma_f64 v[92:93], v[30:31], s[18:19], -v[28:29]
	v_fmac_f64_e32 v[28:29], s[18:19], v[30:31]
	v_add_f64 v[18:19], v[18:19], v[42:43]
	v_mul_f64 v[30:31], v[16:17], s[10:11]
	v_add_f64 v[28:29], v[28:29], v[32:33]
	v_fma_f64 v[32:33], v[18:19], s[12:13], -v[30:31]
	v_fmac_f64_e32 v[30:31], s[12:13], v[18:19]
	v_add_f64 v[30:31], v[30:31], v[34:35]
	v_mul_f64 v[34:35], v[16:17], s[34:35]
	v_add_f64 v[32:33], v[32:33], v[38:39]
	v_fma_f64 v[38:39], v[18:19], s[18:19], -v[34:35]
	v_fmac_f64_e32 v[34:35], s[18:19], v[18:19]
	v_mul_f64 v[40:41], v[16:17], s[28:29]
	v_add_f64 v[34:35], v[34:35], v[44:45]
	v_fma_f64 v[42:43], v[18:19], s[8:9], -v[40:41]
	v_fmac_f64_e32 v[40:41], s[8:9], v[18:19]
	v_mul_f64 v[44:45], v[16:17], s[26:27]
	v_add_f64 v[38:39], v[38:39], v[46:47]
	v_add_f64 v[40:41], v[40:41], v[48:49]
	v_fma_f64 v[46:47], v[18:19], s[2:3], -v[44:45]
	v_fmac_f64_e32 v[44:45], s[2:3], v[18:19]
	v_mul_f64 v[48:49], v[16:17], s[38:39]
	v_mul_f64 v[16:17], v[16:17], s[30:31]
	v_add_f64 v[12:13], v[12:13], -v[20:21]
	v_add_f64 v[42:43], v[42:43], v[50:51]
	v_add_f64 v[44:45], v[44:45], v[52:53]
	v_fma_f64 v[50:51], v[18:19], s[22:23], -v[48:49]
	v_fmac_f64_e32 v[48:49], s[22:23], v[18:19]
	v_fma_f64 v[52:53], v[18:19], s[6:7], -v[16:17]
	v_fmac_f64_e32 v[16:17], s[6:7], v[18:19]
	v_add_f64 v[14:15], v[14:15], v[22:23]
	v_mul_f64 v[18:19], v[12:13], s[16:17]
	v_mul_f64 v[22:23], v[12:13], s[24:25]
	v_add_f64 v[16:17], v[16:17], v[28:29]
	v_fma_f64 v[20:21], v[14:15], s[18:19], -v[18:19]
	v_fmac_f64_e32 v[18:19], s[18:19], v[14:15]
	v_fma_f64 v[28:29], v[14:15], s[2:3], -v[22:23]
	v_fmac_f64_e32 v[22:23], s[2:3], v[14:15]
	v_add_f64 v[18:19], v[18:19], v[30:31]
	v_add_f64 v[22:23], v[22:23], v[34:35]
	v_mul_f64 v[30:31], v[12:13], s[14:15]
	v_mul_f64 v[34:35], v[12:13], s[38:39]
	v_add_f64 v[96:97], v[96:97], v[104:105]
	v_add_f64 v[20:21], v[20:21], v[32:33]
	;; [unrolled: 1-line block ×3, first 2 shown]
	v_fma_f64 v[32:33], v[14:15], s[6:7], -v[30:31]
	v_fmac_f64_e32 v[30:31], s[6:7], v[14:15]
	v_fma_f64 v[38:39], v[14:15], s[22:23], -v[34:35]
	v_fmac_f64_e32 v[34:35], s[22:23], v[14:15]
	v_add_f64 v[56:57], v[56:57], v[96:97]
	v_add_f64 v[30:31], v[30:31], v[40:41]
	;; [unrolled: 1-line block ×3, first 2 shown]
	v_mul_f64 v[34:35], v[12:13], s[28:29]
	v_add_f64 v[8:9], v[8:9], -v[4:5]
	v_add_f64 v[48:49], v[48:49], v[56:57]
	v_add_f64 v[32:33], v[32:33], v[42:43]
	v_fma_f64 v[42:43], v[14:15], s[8:9], -v[34:35]
	v_fmac_f64_e32 v[34:35], s[8:9], v[14:15]
	v_mul_f64 v[12:13], v[12:13], s[10:11]
	v_add_f64 v[10:11], v[6:7], v[10:11]
	v_mul_f64 v[4:5], v[8:9], s[20:21]
	v_add_f64 v[44:45], v[34:35], v[48:49]
	v_fma_f64 v[34:35], v[14:15], s[12:13], -v[12:13]
	v_fmac_f64_e32 v[12:13], s[12:13], v[14:15]
	v_fma_f64 v[6:7], v[10:11], s[22:23], -v[4:5]
	v_fmac_f64_e32 v[4:5], s[22:23], v[10:11]
	v_add_f64 v[94:95], v[94:95], v[102:103]
	v_add_f64 v[100:101], v[100:101], v[108:109]
	;; [unrolled: 1-line block ×5, first 2 shown]
	v_mul_f64 v[4:5], v[8:9], s[28:29]
	v_add_f64 v[54:55], v[54:55], v[94:95]
	v_add_f64 v[92:93], v[92:93], v[100:101]
	v_fma_f64 v[12:13], v[10:11], s[8:9], -v[4:5]
	v_fmac_f64_e32 v[4:5], s[8:9], v[10:11]
	v_add_f64 v[46:47], v[46:47], v[54:55]
	v_add_f64 v[52:53], v[52:53], v[92:93]
	v_add_f64 v[20:21], v[4:5], v[22:23]
	v_mul_f64 v[4:5], v[8:9], s[16:17]
	v_add_f64 v[38:39], v[38:39], v[46:47]
	v_add_f64 v[46:47], v[34:35], v[52:53]
	;; [unrolled: 1-line block ×3, first 2 shown]
	v_fma_f64 v[12:13], v[10:11], s[18:19], -v[4:5]
	v_fmac_f64_e32 v[4:5], s[18:19], v[10:11]
	v_add_f64 v[98:99], v[98:99], v[106:107]
	v_add_f64 v[22:23], v[12:13], v[32:33]
	;; [unrolled: 1-line block ×3, first 2 shown]
	v_mul_f64 v[4:5], v[8:9], s[30:31]
	v_add_f64 v[58:59], v[58:59], v[98:99]
	v_fma_f64 v[12:13], v[10:11], s[6:7], -v[4:5]
	v_add_f64 v[50:51], v[50:51], v[58:59]
	v_add_f64 v[14:15], v[12:13], v[38:39]
	v_fmac_f64_e32 v[4:5], s[6:7], v[10:11]
	v_mul_f64 v[12:13], v[8:9], s[10:11]
	v_mul_f64 v[8:9], v[8:9], s[24:25]
	v_add_f64 v[42:43], v[42:43], v[50:51]
	v_add_f64 v[18:19], v[4:5], v[40:41]
	v_fma_f64 v[4:5], v[10:11], s[12:13], -v[12:13]
	v_fmac_f64_e32 v[12:13], s[12:13], v[10:11]
	v_fma_f64 v[28:29], v[10:11], s[2:3], -v[8:9]
	v_fmac_f64_e32 v[8:9], s[2:3], v[10:11]
	v_add_f64 v[4:5], v[4:5], v[42:43]
	v_add_f64 v[12:13], v[12:13], v[44:45]
	;; [unrolled: 1-line block ×4, first 2 shown]
	s_waitcnt lgkmcnt(0)
	; wave barrier
	s_waitcnt lgkmcnt(0)
	ds_write2_b64 v63, v[80:81], v[16:17] offset1:1
	ds_write2_b64 v63, v[34:35], v[22:23] offset0:2 offset1:3
	ds_write2_b64 v63, v[14:15], v[4:5] offset0:4 offset1:5
	;; [unrolled: 1-line block ×5, first 2 shown]
	ds_write_b64 v63, v[6:7] offset:96
	s_waitcnt lgkmcnt(0)
	; wave barrier
	s_waitcnt lgkmcnt(0)
                                        ; implicit-def: $vgpr8_vgpr9
                                        ; implicit-def: $vgpr30_vgpr31
	s_and_saveexec_b64 s[2:3], s[0:1]
	s_cbranch_execnz .LBB0_16
; %bb.14:
	s_or_b64 exec, exec, s[2:3]
	s_and_b64 s[0:1], vcc, s[0:1]
	s_and_saveexec_b64 s[2:3], s[0:1]
	s_cbranch_execnz .LBB0_17
.LBB0_15:
	s_endpgm
.LBB0_16:
	v_add3_u32 v13, 0, v90, v89
	v_add3_u32 v12, 0, v89, v90
	ds_read2_b64 v[40:43], v13 offset0:13 offset1:26
	ds_read2_b64 v[44:47], v13 offset0:39 offset1:52
	ds_read2_b64 v[14:17], v13 offset0:65 offset1:78
	ds_read2_b64 v[48:51], v13 offset0:91 offset1:104
	ds_read2_b64 v[18:21], v13 offset0:117 offset1:130
	ds_read2_b64 v[4:7], v13 offset0:143 offset1:156
	ds_read2_b64 v[8:11], v13 offset0:169 offset1:182
	ds_read_b64 v[80:81], v12
	ds_read_b64 v[30:31], v13 offset:1560
	s_waitcnt lgkmcnt(5)
	v_mov_b64_e32 v[12:13], v[50:51]
	s_waitcnt lgkmcnt(4)
	v_mov_b64_e32 v[32:33], v[20:21]
	;; [unrolled: 2-line block ×3, first 2 shown]
	v_mov_b64_e32 v[28:29], v[48:49]
	v_mov_b64_e32 v[38:39], v[16:17]
	;; [unrolled: 1-line block ×7, first 2 shown]
	s_or_b64 exec, exec, s[2:3]
	s_and_b64 s[0:1], vcc, s[0:1]
	s_and_saveexec_b64 s[2:3], s[0:1]
	s_cbranch_execz .LBB0_15
.LBB0_17:
	v_mul_u32_u24_e32 v40, 15, v88
	v_lshlrev_b32_e32 v63, 4, v40
	global_load_dwordx4 v[40:43], v63, s[4:5] offset:16
	global_load_dwordx4 v[44:47], v63, s[4:5] offset:144
	global_load_dwordx4 v[48:51], v63, s[4:5] offset:80
	global_load_dwordx4 v[52:55], v63, s[4:5] offset:208
	global_load_dwordx4 v[56:59], v63, s[4:5] offset:32
	global_load_dwordx4 v[88:91], v63, s[4:5] offset:48
	global_load_dwordx4 v[92:95], v63, s[4:5]
	global_load_dwordx4 v[96:99], v63, s[4:5] offset:112
	global_load_dwordx4 v[100:103], v63, s[4:5] offset:176
	;; [unrolled: 1-line block ×5, first 2 shown]
	s_mov_b32 s0, 0x667f3bcd
	s_mov_b32 s1, 0x3fe6a09e
	;; [unrolled: 1-line block ×9, first 2 shown]
	s_waitcnt vmcnt(11)
	v_mul_f64 v[116:117], v[78:79], v[42:43]
	v_fma_f64 v[116:117], v[34:35], v[40:41], -v[116:117]
	v_mul_f64 v[118:119], v[34:35], v[42:43]
	s_waitcnt vmcnt(10)
	v_mul_f64 v[34:35], v[82:83], v[46:47]
	v_fmac_f64_e32 v[118:119], v[78:79], v[40:41]
	global_load_dwordx4 v[40:43], v63, s[4:5] offset:64
	v_fma_f64 v[78:79], v[32:33], v[44:45], -v[34:35]
	v_mul_f64 v[120:121], v[32:33], v[46:47]
	global_load_dwordx4 v[32:35], v63, s[4:5] offset:192
	v_fmac_f64_e32 v[120:121], v[82:83], v[44:45]
	s_waitcnt vmcnt(11)
	v_mul_f64 v[44:45], v[86:87], v[50:51]
	v_mul_f64 v[82:83], v[38:39], v[50:51]
	v_fma_f64 v[38:39], v[38:39], v[48:49], -v[44:45]
	global_load_dwordx4 v[44:47], v63, s[4:5] offset:224
	s_waitcnt vmcnt(10)
	v_mul_f64 v[50:51], v[74:75], v[58:59]
	v_fma_f64 v[50:51], v[22:23], v[56:57], -v[50:51]
	v_mul_f64 v[22:23], v[22:23], v[58:59]
	v_fmac_f64_e32 v[82:83], v[86:87], v[48:49]
	s_waitcnt lgkmcnt(2)
	v_mul_f64 v[48:49], v[10:11], v[54:55]
	v_fmac_f64_e32 v[22:23], v[74:75], v[56:57]
	s_waitcnt vmcnt(5)
	v_mul_f64 v[74:75], v[72:73], v[106:107]
	v_fma_f64 v[74:75], v[20:21], v[104:105], -v[74:75]
	v_mul_f64 v[20:21], v[20:21], v[106:107]
	v_mul_f64 v[54:55], v[26:27], v[54:55]
	v_fmac_f64_e32 v[48:49], v[26:27], v[52:53]
	v_fmac_f64_e32 v[20:21], v[72:73], v[104:105]
	v_mul_f64 v[72:73], v[6:7], v[102:103]
	v_mul_f64 v[56:57], v[66:67], v[98:99]
	s_waitcnt vmcnt(3)
	v_mul_f64 v[86:87], v[28:29], v[114:115]
	v_fmac_f64_e32 v[72:73], v[2:3], v[100:101]
	v_mul_f64 v[2:3], v[2:3], v[102:103]
	v_mul_f64 v[58:59], v[14:15], v[90:91]
	v_fmac_f64_e32 v[86:87], v[76:77], v[112:113]
	v_mul_f64 v[76:77], v[76:77], v[114:115]
	v_fma_f64 v[10:11], v[10:11], v[52:53], -v[54:55]
	v_fma_f64 v[56:57], v[12:13], v[96:97], -v[56:57]
	;; [unrolled: 1-line block ×4, first 2 shown]
	v_mul_f64 v[76:77], v[68:69], v[94:95]
	v_mul_f64 v[104:105], v[0:1], v[110:111]
	v_fma_f64 v[54:55], v[16:17], v[92:93], -v[76:77]
	v_mul_f64 v[16:17], v[16:17], v[94:95]
	v_fma_f64 v[76:77], v[18:19], v[108:109], -v[104:105]
	v_mul_f64 v[18:19], v[18:19], v[110:111]
	v_fmac_f64_e32 v[58:59], v[64:65], v[88:89]
	v_fmac_f64_e32 v[16:17], v[68:69], v[92:93]
	;; [unrolled: 1-line block ×3, first 2 shown]
	v_add_f64 v[0:1], v[116:117], -v[78:79]
	v_add_f64 v[68:69], v[54:55], -v[76:77]
	;; [unrolled: 1-line block ×3, first 2 shown]
	v_fma_f64 v[54:55], v[54:55], 2.0, -v[68:69]
	v_add_f64 v[10:11], v[38:39], -v[10:11]
	v_add_f64 v[20:21], v[22:23], -v[20:21]
	s_mov_b32 s4, 0xa6aea964
	s_mov_b32 s5, 0xbfd87de2
	;; [unrolled: 1-line block ×3, first 2 shown]
	v_mov_b32_e32 v63, 0
	s_waitcnt vmcnt(2)
	v_mul_f64 v[106:107], v[4:5], v[42:43]
	v_mul_f64 v[42:43], v[70:71], v[42:43]
	v_fmac_f64_e32 v[106:107], v[70:71], v[40:41]
	s_waitcnt vmcnt(1)
	v_mul_f64 v[26:27], v[8:9], v[34:35]
	v_fmac_f64_e32 v[26:27], v[24:25], v[32:33]
	v_mul_f64 v[24:25], v[24:25], v[34:35]
	v_fma_f64 v[8:9], v[8:9], v[32:33], -v[24:25]
	v_mul_f64 v[32:33], v[64:65], v[90:91]
	s_waitcnt vmcnt(0) lgkmcnt(0)
	v_mul_f64 v[52:53], v[30:31], v[46:47]
	v_mul_f64 v[46:47], v[84:85], v[46:47]
	v_fma_f64 v[14:15], v[14:15], v[88:89], -v[32:33]
	v_fma_f64 v[30:31], v[30:31], v[44:45], -v[46:47]
	v_add_f64 v[46:47], v[80:81], -v[56:57]
	v_add_f64 v[32:33], v[14:15], -v[2:3]
	v_fmac_f64_e32 v[52:53], v[84:85], v[44:45]
	v_add_f64 v[44:45], v[82:83], -v[48:49]
	v_add_f64 v[56:57], v[118:119], -v[120:121]
	v_fma_f64 v[40:41], v[4:5], v[40:41], -v[42:43]
	v_mul_f64 v[2:3], v[12:13], v[98:99]
	v_fma_f64 v[80:81], v[80:81], 2.0, -v[46:47]
	v_fma_f64 v[12:13], v[14:15], 2.0, -v[32:33]
	v_add_f64 v[24:25], v[40:41], -v[8:9]
	v_add_f64 v[88:89], v[80:81], -v[12:13]
	v_fma_f64 v[90:91], v[118:119], 2.0, -v[56:57]
	v_fma_f64 v[12:13], v[82:83], 2.0, -v[44:45]
	v_add_f64 v[48:49], v[58:59], -v[72:73]
	v_add_f64 v[26:27], v[106:107], -v[26:27]
	;; [unrolled: 1-line block ×6, first 2 shown]
	v_fma_f64 v[12:13], v[40:41], 2.0, -v[24:25]
	v_add_f64 v[30:31], v[28:29], -v[30:31]
	v_fmac_f64_e32 v[2:3], v[66:67], v[96:97]
	v_add_f64 v[96:97], v[54:55], -v[12:13]
	v_fma_f64 v[12:13], v[86:87], 2.0, -v[52:53]
	v_fma_f64 v[86:87], v[16:17], 2.0, -v[18:19]
	;; [unrolled: 1-line block ×3, first 2 shown]
	v_add_f64 v[76:77], v[46:47], -v[48:49]
	v_add_f64 v[78:79], v[56:57], v[10:11]
	v_add_f64 v[84:85], v[68:69], -v[26:27]
	v_add_f64 v[92:93], v[72:73], -v[52:53]
	;; [unrolled: 1-line block ×4, first 2 shown]
	v_fma_f64 v[14:15], v[28:29], 2.0, -v[30:31]
	v_fma_f64 v[28:29], v[116:117], 2.0, -v[0:1]
	;; [unrolled: 1-line block ×3, first 2 shown]
	v_fma_f64 v[94:95], s[0:1], v[74:75], v[76:77]
	v_fma_f64 v[104:105], s[0:1], v[92:93], v[84:85]
	v_add_f64 v[108:109], v[20:21], v[30:31]
	v_add_f64 v[34:35], v[18:19], v[24:25]
	v_add_f64 v[38:39], v[28:29], -v[10:11]
	v_fma_f64 v[36:37], v[36:37], 2.0, -v[64:65]
	v_fma_f64 v[10:11], v[58:59], 2.0, -v[48:49]
	v_fmac_f64_e32 v[94:95], s[2:3], v[78:79]
	v_fmac_f64_e32 v[104:105], s[2:3], v[108:109]
	v_fma_f64 v[42:43], s[0:1], v[108:109], v[34:35]
	v_add_f64 v[66:67], v[64:65], v[32:33]
	v_add_f64 v[58:59], v[36:37], -v[10:11]
	v_fmac_f64_e32 v[42:43], s[0:1], v[92:93]
	v_add_f64 v[82:83], v[88:89], -v[44:45]
	v_fma_f64 v[32:33], v[22:23], 2.0, -v[20:21]
	v_add_f64 v[100:101], v[38:39], v[58:59]
	v_fma_f64 v[102:103], v[46:47], 2.0, -v[76:77]
	v_fma_f64 v[22:23], v[56:57], 2.0, -v[78:79]
	;; [unrolled: 1-line block ×9, first 2 shown]
	v_fma_f64 v[70:71], s[0:1], v[78:79], v[66:67]
	v_fma_f64 v[26:27], v[50:51], 2.0, -v[72:73]
	v_fma_f64 v[0:1], v[0:1], 2.0, -v[74:75]
	;; [unrolled: 1-line block ×4, first 2 shown]
	v_fma_f64 v[92:93], s[2:3], v[22:23], v[64:65]
	v_add_f64 v[90:91], v[108:109], -v[36:37]
	v_fma_f64 v[36:37], s[4:5], v[44:45], v[38:39]
	v_fma_f64 v[34:35], v[34:35], 2.0, -v[42:43]
	v_fmac_f64_e32 v[70:71], s[0:1], v[74:75]
	v_add_f64 v[40:41], v[32:33], -v[12:13]
	v_fma_f64 v[74:75], s[2:3], v[0:1], v[102:103]
	v_fma_f64 v[56:57], v[68:69], 2.0, -v[84:85]
	v_fmac_f64_e32 v[92:93], s[0:1], v[0:1]
	v_fma_f64 v[0:1], v[80:81], 2.0, -v[88:89]
	v_fmac_f64_e32 v[36:37], s[10:11], v[34:35]
	v_fma_f64 v[4:5], s[8:9], v[104:105], v[94:95]
	v_add_f64 v[52:53], v[96:97], -v[40:41]
	v_add_f64 v[30:31], v[26:27], -v[14:15]
	v_fma_f64 v[68:69], s[2:3], v[24:25], v[56:57]
	v_add_f64 v[80:81], v[0:1], -v[28:29]
	v_fma_f64 v[28:29], v[32:33], 2.0, -v[40:41]
	v_fma_f64 v[40:41], v[38:39], 2.0, -v[36:37]
	;; [unrolled: 1-line block ×3, first 2 shown]
	v_fmac_f64_e32 v[4:5], s[4:5], v[42:43]
	v_fma_f64 v[2:3], s[8:9], v[42:43], v[70:71]
	v_fma_f64 v[12:13], s[0:1], v[52:53], v[82:83]
	v_add_f64 v[50:51], v[98:99], v[30:31]
	v_fmac_f64_e32 v[68:69], s[2:3], v[46:47]
	v_fma_f64 v[78:79], s[2:3], v[46:47], v[72:73]
	v_fma_f64 v[34:35], s[4:5], v[34:35], v[38:39]
	v_fma_f64 v[42:43], v[88:89], 2.0, -v[82:83]
	v_fma_f64 v[46:47], v[96:97], 2.0, -v[52:53]
	v_fmac_f64_e32 v[12:13], s[2:3], v[50:51]
	v_fma_f64 v[10:11], s[0:1], v[50:51], v[100:101]
	v_fmac_f64_e32 v[34:35], s[8:9], v[44:45]
	v_fma_f64 v[44:45], s[2:3], v[46:47], v[42:43]
	v_fma_f64 v[50:51], v[98:99], 2.0, -v[50:51]
	v_fmac_f64_e32 v[10:11], s[0:1], v[52:53]
	v_fmac_f64_e32 v[44:45], s[2:3], v[50:51]
	v_fma_f64 v[52:53], v[58:59], 2.0, -v[100:101]
	v_fmac_f64_e32 v[74:75], s[2:3], v[22:23]
	v_fma_f64 v[48:49], v[42:43], 2.0, -v[44:45]
	v_fma_f64 v[42:43], s[2:3], v[50:51], v[52:53]
	v_fmac_f64_e32 v[78:79], s[0:1], v[24:25]
	v_fma_f64 v[110:111], v[54:55], 2.0, -v[96:97]
	v_fmac_f64_e32 v[42:43], s[0:1], v[46:47]
	v_fma_f64 v[50:51], v[102:103], 2.0, -v[74:75]
	v_fma_f64 v[54:55], v[56:57], 2.0, -v[68:69]
	;; [unrolled: 1-line block ×4, first 2 shown]
	v_fma_f64 v[52:53], s[10:11], v[54:55], v[50:51]
	v_fma_f64 v[58:59], v[72:73], 2.0, -v[78:79]
	v_add_f64 v[112:113], v[110:111], -v[26:27]
	v_fmac_f64_e32 v[52:53], s[4:5], v[58:59]
	v_fma_f64 v[64:65], v[64:65], 2.0, -v[92:93]
	v_fma_f64 v[86:87], v[86:87], 2.0, -v[98:99]
	;; [unrolled: 1-line block ×3, first 2 shown]
	v_fma_f64 v[50:51], s[10:11], v[58:59], v[64:65]
	v_fma_f64 v[0:1], v[0:1], 2.0, -v[80:81]
	v_fma_f64 v[58:59], v[110:111], 2.0, -v[112:113]
	v_fmac_f64_e32 v[2:3], s[6:7], v[104:105]
	v_add_f64 v[106:107], v[86:87], -v[28:29]
	v_add_f64 v[66:67], v[0:1], -v[58:59]
	v_fma_f64 v[6:7], v[70:71], 2.0, -v[2:3]
	v_fmac_f64_e32 v[50:51], s[6:7], v[54:55]
	v_fma_f64 v[70:71], v[0:1], 2.0, -v[66:67]
	v_fma_f64 v[0:1], v[108:109], 2.0, -v[90:91]
	;; [unrolled: 1-line block ×3, first 2 shown]
	v_fma_f64 v[20:21], s[6:7], v[68:69], v[74:75]
	v_fma_f64 v[18:19], s[6:7], v[78:79], v[92:93]
	v_fma_f64 v[54:55], v[64:65], 2.0, -v[50:51]
	v_add_f64 v[64:65], v[0:1], -v[58:59]
	v_fmac_f64_e32 v[20:21], s[10:11], v[78:79]
	v_fmac_f64_e32 v[18:19], s[8:9], v[68:69]
	v_add_f64 v[28:29], v[80:81], -v[106:107]
	v_add_f64 v[26:27], v[90:91], v[112:113]
	v_fma_f64 v[68:69], v[0:1], 2.0, -v[64:65]
	v_lshl_add_u64 v[0:1], v[60:61], 0, v[62:63]
	v_fma_f64 v[8:9], v[94:95], 2.0, -v[4:5]
	v_fma_f64 v[16:17], v[82:83], 2.0, -v[12:13]
	;; [unrolled: 1-line block ×8, first 2 shown]
	global_store_dwordx4 v[0:1], v[68:71], off
	global_store_dwordx4 v[0:1], v[54:57], off offset:208
	global_store_dwordx4 v[0:1], v[46:49], off offset:416
	;; [unrolled: 1-line block ×15, first 2 shown]
	s_endpgm
	.section	.rodata,"a",@progbits
	.p2align	6, 0x0
	.amdhsa_kernel fft_rtc_back_len208_factors_13_16_wgs_64_tpt_16_halfLds_dp_ip_CI_unitstride_sbrr_dirReg
		.amdhsa_group_segment_fixed_size 0
		.amdhsa_private_segment_fixed_size 0
		.amdhsa_kernarg_size 88
		.amdhsa_user_sgpr_count 2
		.amdhsa_user_sgpr_dispatch_ptr 0
		.amdhsa_user_sgpr_queue_ptr 0
		.amdhsa_user_sgpr_kernarg_segment_ptr 1
		.amdhsa_user_sgpr_dispatch_id 0
		.amdhsa_user_sgpr_kernarg_preload_length 0
		.amdhsa_user_sgpr_kernarg_preload_offset 0
		.amdhsa_user_sgpr_private_segment_size 0
		.amdhsa_uses_dynamic_stack 0
		.amdhsa_enable_private_segment 0
		.amdhsa_system_sgpr_workgroup_id_x 1
		.amdhsa_system_sgpr_workgroup_id_y 0
		.amdhsa_system_sgpr_workgroup_id_z 0
		.amdhsa_system_sgpr_workgroup_info 0
		.amdhsa_system_vgpr_workitem_id 0
		.amdhsa_next_free_vgpr 122
		.amdhsa_next_free_sgpr 44
		.amdhsa_accum_offset 124
		.amdhsa_reserve_vcc 1
		.amdhsa_float_round_mode_32 0
		.amdhsa_float_round_mode_16_64 0
		.amdhsa_float_denorm_mode_32 3
		.amdhsa_float_denorm_mode_16_64 3
		.amdhsa_dx10_clamp 1
		.amdhsa_ieee_mode 1
		.amdhsa_fp16_overflow 0
		.amdhsa_tg_split 0
		.amdhsa_exception_fp_ieee_invalid_op 0
		.amdhsa_exception_fp_denorm_src 0
		.amdhsa_exception_fp_ieee_div_zero 0
		.amdhsa_exception_fp_ieee_overflow 0
		.amdhsa_exception_fp_ieee_underflow 0
		.amdhsa_exception_fp_ieee_inexact 0
		.amdhsa_exception_int_div_zero 0
	.end_amdhsa_kernel
	.text
.Lfunc_end0:
	.size	fft_rtc_back_len208_factors_13_16_wgs_64_tpt_16_halfLds_dp_ip_CI_unitstride_sbrr_dirReg, .Lfunc_end0-fft_rtc_back_len208_factors_13_16_wgs_64_tpt_16_halfLds_dp_ip_CI_unitstride_sbrr_dirReg
                                        ; -- End function
	.section	.AMDGPU.csdata,"",@progbits
; Kernel info:
; codeLenInByte = 7144
; NumSgprs: 50
; NumVgprs: 122
; NumAgprs: 0
; TotalNumVgprs: 122
; ScratchSize: 0
; MemoryBound: 1
; FloatMode: 240
; IeeeMode: 1
; LDSByteSize: 0 bytes/workgroup (compile time only)
; SGPRBlocks: 6
; VGPRBlocks: 15
; NumSGPRsForWavesPerEU: 50
; NumVGPRsForWavesPerEU: 122
; AccumOffset: 124
; Occupancy: 4
; WaveLimiterHint : 1
; COMPUTE_PGM_RSRC2:SCRATCH_EN: 0
; COMPUTE_PGM_RSRC2:USER_SGPR: 2
; COMPUTE_PGM_RSRC2:TRAP_HANDLER: 0
; COMPUTE_PGM_RSRC2:TGID_X_EN: 1
; COMPUTE_PGM_RSRC2:TGID_Y_EN: 0
; COMPUTE_PGM_RSRC2:TGID_Z_EN: 0
; COMPUTE_PGM_RSRC2:TIDIG_COMP_CNT: 0
; COMPUTE_PGM_RSRC3_GFX90A:ACCUM_OFFSET: 30
; COMPUTE_PGM_RSRC3_GFX90A:TG_SPLIT: 0
	.text
	.p2alignl 6, 3212836864
	.fill 256, 4, 3212836864
	.type	__hip_cuid_3fb9cc8c1af34e2,@object ; @__hip_cuid_3fb9cc8c1af34e2
	.section	.bss,"aw",@nobits
	.globl	__hip_cuid_3fb9cc8c1af34e2
__hip_cuid_3fb9cc8c1af34e2:
	.byte	0                               ; 0x0
	.size	__hip_cuid_3fb9cc8c1af34e2, 1

	.ident	"AMD clang version 19.0.0git (https://github.com/RadeonOpenCompute/llvm-project roc-6.4.0 25133 c7fe45cf4b819c5991fe208aaa96edf142730f1d)"
	.section	".note.GNU-stack","",@progbits
	.addrsig
	.addrsig_sym __hip_cuid_3fb9cc8c1af34e2
	.amdgpu_metadata
---
amdhsa.kernels:
  - .agpr_count:     0
    .args:
      - .actual_access:  read_only
        .address_space:  global
        .offset:         0
        .size:           8
        .value_kind:     global_buffer
      - .offset:         8
        .size:           8
        .value_kind:     by_value
      - .actual_access:  read_only
        .address_space:  global
        .offset:         16
        .size:           8
        .value_kind:     global_buffer
      - .actual_access:  read_only
        .address_space:  global
        .offset:         24
        .size:           8
        .value_kind:     global_buffer
      - .offset:         32
        .size:           8
        .value_kind:     by_value
      - .actual_access:  read_only
        .address_space:  global
        .offset:         40
        .size:           8
        .value_kind:     global_buffer
      - .actual_access:  read_only
        .address_space:  global
        .offset:         48
        .size:           8
        .value_kind:     global_buffer
      - .offset:         56
        .size:           4
        .value_kind:     by_value
      - .actual_access:  read_only
        .address_space:  global
        .offset:         64
        .size:           8
        .value_kind:     global_buffer
      - .actual_access:  read_only
        .address_space:  global
        .offset:         72
        .size:           8
        .value_kind:     global_buffer
      - .address_space:  global
        .offset:         80
        .size:           8
        .value_kind:     global_buffer
    .group_segment_fixed_size: 0
    .kernarg_segment_align: 8
    .kernarg_segment_size: 88
    .language:       OpenCL C
    .language_version:
      - 2
      - 0
    .max_flat_workgroup_size: 64
    .name:           fft_rtc_back_len208_factors_13_16_wgs_64_tpt_16_halfLds_dp_ip_CI_unitstride_sbrr_dirReg
    .private_segment_fixed_size: 0
    .sgpr_count:     50
    .sgpr_spill_count: 0
    .symbol:         fft_rtc_back_len208_factors_13_16_wgs_64_tpt_16_halfLds_dp_ip_CI_unitstride_sbrr_dirReg.kd
    .uniform_work_group_size: 1
    .uses_dynamic_stack: false
    .vgpr_count:     122
    .vgpr_spill_count: 0
    .wavefront_size: 64
amdhsa.target:   amdgcn-amd-amdhsa--gfx950
amdhsa.version:
  - 1
  - 2
...

	.end_amdgpu_metadata
